;; amdgpu-corpus repo=ROCm/hipBLASLt kind=harvested arch=n/a opt=n/a

/******************************************/
/* Begin Kernel                           */
/******************************************/
.amdgcn_target "amdgcn-amd-amdhsa--gfx942"
.text
.protected CustomGSUs_Cijk_Ailk_Bljk_F8NH_HHS_BH_MT64x16x128_MI16x16x1_15_Equality_gfx942
.globl CustomGSUs_Cijk_Ailk_Bljk_F8NH_HHS_BH_MT64x16x128_MI16x16x1_15_Equality_gfx942
.p2align 8
.type CustomGSUs_Cijk_Ailk_Bljk_F8NH_HHS_BH_MT64x16x128_MI16x16x1_15_Equality_gfx942,@function
.section .rodata,#alloc
.p2align 6
.amdhsa_kernel CustomGSUs_Cijk_Ailk_Bljk_F8NH_HHS_BH_MT64x16x128_MI16x16x1_15_Equality_gfx942
  .amdhsa_user_sgpr_kernarg_segment_ptr 1
  .amdhsa_accum_offset 256 // accvgpr offset
  .amdhsa_next_free_vgpr 260 // vgprs
  .amdhsa_next_free_sgpr 78 // sgprs
  .amdhsa_group_segment_fixed_size 54272 // lds bytes
  .amdhsa_private_segment_fixed_size 0
  .amdhsa_system_sgpr_workgroup_id_x 1
  .amdhsa_system_sgpr_workgroup_id_y 1
  .amdhsa_system_sgpr_workgroup_id_z 1
  .amdhsa_system_vgpr_workitem_id 0
  .amdhsa_float_denorm_mode_32 3
  .amdhsa_float_denorm_mode_16_64 3
  .amdhsa_user_sgpr_count 13
  .amdhsa_user_sgpr_kernarg_preload_length 11
  .amdhsa_user_sgpr_kernarg_preload_offset 0
.end_amdhsa_kernel
.text
/* Num VGPR   =256 */
/* Num AccVGPR=4 */
/* Num SGPR   =78 */

/******************************************/
/* Optimizations and Config:              */
/******************************************/
/* ThreadTile= 4 x 1 */
/* SubGroup= 16 x 16 */
/* VectorWidthA=1 */
/* VectorWidthB=1 */
/* GlobalReadVectorWidthA=8, GlobalReadVectorWidthB=8 */
/* DirectToLdsA=False */
/* DirectToLdsB=False */
/* UseSgprForGRO=1 */
.amdgpu_metadata
---
custom.config:
   InternalSupportParams:
      KernArgsVersion: 0
      SupportUserGSU: True
      SupportCustomWGM: True
      SupportCustomStaggerU: False
      UseUniversalArgs: False
amdhsa.version:
  - 1
  - 1
amdhsa.kernels:
  - .name: CustomGSUs_Cijk_Ailk_Bljk_F8NH_HHS_BH_MT64x16x128_MI16x16x1_15_Equality_gfx942
    .symbol: 'CustomGSUs_Cijk_Ailk_Bljk_F8NH_HHS_BH_MT64x16x128_MI16x16x1_15_Equality_gfx942.kd'
    .language:                   OpenCL C
    .language_version:
      - 2
      - 0
    .args:
      - .name:            SizesFree0
        .size:            4
        .offset:          0
        .value_kind:      by_value
        .value_type:      u32
      - .name:            SizesFree1
        .size:            4
        .offset:          4
        .value_kind:      by_value
        .value_type:      u32
      - .name:            SizesFree2
        .size:            4
        .offset:          8
        .value_kind:      by_value
        .value_type:      u32
      - .name:            SizesSum0
        .size:            4
        .offset:          12
        .value_kind:      by_value
        .value_type:      u32
      - .name:            D
        .size:            8
        .offset:          16
        .value_kind:      global_buffer
        .value_type:      f16
        .address_space:   generic
      - .name:            C
        .size:            8
        .offset:          24
        .value_kind:      global_buffer
        .value_type:      f16
        .address_space:   generic
      - .name:            A
        .size:            8
        .offset:          32
        .value_kind:      global_buffer
        .value_type:      f16
        .address_space:   generic
      - .name:            B
        .size:            8
        .offset:          40
        .value_kind:      global_buffer
        .value_type:      f16
        .address_space:   generic
      - .name:            strideD0
        .size:            4
        .offset:          48
        .value_kind:      by_value
        .value_type:      u32
      - .name:            strideD1
        .size:            4
        .offset:          52
        .value_kind:      by_value
        .value_type:      u32
      - .name:            strideC0
        .size:            4
        .offset:          56
        .value_kind:      by_value
        .value_type:      u32
      - .name:            strideC1
        .size:            4
        .offset:          60
        .value_kind:      by_value
        .value_type:      u32
      - .name:            strideA0
        .size:            4
        .offset:          64
        .value_kind:      by_value
        .value_type:      u32
      - .name:            strideA1
        .size:            4
        .offset:          68
        .value_kind:      by_value
        .value_type:      u32
      - .name:            strideB0
        .size:            4
        .offset:          72
        .value_kind:      by_value
        .value_type:      u32
      - .name:            strideB1
        .size:            4
        .offset:          76
        .value_kind:      by_value
        .value_type:      u32
      - .name:            alpha
        .size:            4
        .offset:          80
        .value_kind:      by_value
        .value_type:      f32
      - .name:            beta
        .size:            4
        .offset:          84
        .value_kind:      by_value
        .value_type:      f32
      - .name:            internalArgs
        .size:            4
        .offset:          88
        .value_kind:      by_value
        .value_type:      u32
      - .name:            dstD
        .size:            8
        .offset:          92
        .value_kind:      global_buffer
        .value_type:      f16
        .address_space:   generic
      - .name:            Synchronizer
        .size:            8
        .offset:          100
        .value_kind:      global_buffer
        .value_type:      f32
        .address_space:   generic
      - .name:            GSUSync
        .size:            4
        .offset:          108
        .value_kind:      by_value
        .value_type:      u32
    .group_segment_fixed_size:   54272
    .kernarg_segment_align:      8
    .kernarg_segment_size:       112
    .max_flat_workgroup_size:    256
    .private_segment_fixed_size: 0
    .sgpr_count:                 78
    .sgpr_spill_count:           0
    .vgpr_count:                 256
    .vgpr_spill_count:           0
    .wavefront_size:             64
...
.end_amdgpu_metadata
CustomGSUs_Cijk_Ailk_Bljk_F8NH_HHS_BH_MT64x16x128_MI16x16x1_15_Equality_gfx942:
.long 0xC0120700, 0x00000000
.long 0xC00A0B00, 0x00000040
	;; [unrolled: 1-line block ×4, first 2 shown]
.long 0xBF82004A
.long 0xBF800000
	;; [unrolled: 1-line block ×56, first 2 shown]
.long 0xC00209C0, 0x0000002C
.long 0xC00E0A00, 0x00000030
	;; [unrolled: 1-line block ×4, first 2 shown]
.long 0xBE9C0002
.long 0xBE9D0003
	;; [unrolled: 1-line block ×14, first 2 shown]
.long 0xBEFC00FF, 0x0000D400
.long 0x7E940300
.long 0x260294BF
	;; [unrolled: 1-line block ×28, first 2 shown]
.long 0xD2850002, 0x0002044A
.long 0xD1FE0048, 0x02060102
.long 0x2006908A
.long 0x24060685
	;; [unrolled: 1-line block ×5, first 2 shown]
.long 0xD2850000, 0x0002004A
.long 0xD1FE0049, 0x02060300
.long 0x20049288
.long 0x24040485
	;; [unrolled: 1-line block ×3, first 2 shown]
.long 0x329292FF, 0x00004200
.long 0x260894BF
.long 0x20020883
	;; [unrolled: 1-line block ×5, first 2 shown]
.long 0xD2850001, 0x00020305
.long 0x68020304
.long 0x24000083
	;; [unrolled: 1-line block ×13, first 2 shown]
.long 0xD1FE0030, 0x02066100
.long 0x200C608A
.long 0x240C0C85
	;; [unrolled: 1-line block ×3, first 2 shown]
.long 0x106204FF, 0x00000080
.long 0xD1FE0031, 0x02066305
.long 0x200C6288
.long 0x240C0C85
	;; [unrolled: 1-line block ×3, first 2 shown]
.long 0x326262FF, 0x00004200
.long 0xBF8CC07F
.long 0x8609FF32, 0x0000FF00
.long 0x8F098809
	;; [unrolled: 2-line block ×4, first 2 shown]
.long 0x7E0E021C
.long 0x7E0C0D08
	;; [unrolled: 1-line block ×8, first 2 shown]
.long 0xD0CD006A, 0x00010109
.long 0xD11C6A06, 0x01A90106
.long 0x7E100290
.long 0x7E0E021D
	;; [unrolled: 1-line block ×10, first 2 shown]
.long 0xD0CD006A, 0x00010109
.long 0xD11C6A06, 0x01A90106
.long 0xBF800000
.long 0x7E2A0506
	;; [unrolled: 1-line block ×6, first 2 shown]
.long 0xD042006A, 0x00010030
.long 0xBF860001
.long 0xBE9F0080
	;; [unrolled: 1-line block ×9, first 2 shown]
.long 0xD1080007, 0x00006506
.long 0x6A0E0E03
.long 0xD0DA007E, 0x00006507
.long 0x680C0C81
.long 0x7E0E0280
	;; [unrolled: 1-line block ×18, first 2 shown]
.long 0xD1080007, 0x00001306
.long 0x6A0E0E03
.long 0xD0DA007E, 0x00001307
.long 0x680C0C81
.long 0xBEFE01C1
	;; [unrolled: 1-line block ×12, first 2 shown]
.long 0xD1080007, 0x00001306
.long 0x6A0E0E15
.long 0xD0DA007E, 0x00001307
.long 0x680C0C81
.long 0xBEFE01C1
	;; [unrolled: 1-line block ×14, first 2 shown]
.long 0xD1080007, 0x00009506
.long 0x6A0E0E4D
.long 0xD0DA007E, 0x00009507
.long 0x680C0C81
.long 0x7E0E0280
	;; [unrolled: 1-line block ×7, first 2 shown]
.long 0xD2850006, 0x0002022C
.long 0x32640D00
.long 0x68646488
	;; [unrolled: 1-line block ×5, first 2 shown]
.long 0xD2850006, 0x0002042E
.long 0x32660D03
.long 0x68666688
	;; [unrolled: 1-line block ×5, first 2 shown]
.long 0x964B06FF, 0x00000080
.long 0x924A06FF, 0x00000080
.long 0x964B2C4A
.long 0x924A2C4A
	;; [unrolled: 1-line block ×28, first 2 shown]
.long 0xBEB700FF, 0x00020000
.long 0x964D9003
.long 0x924C9003
	;; [unrolled: 1-line block ×4, first 2 shown]
.long 0x964B06FF, 0x00000080
.long 0x924A06FF, 0x00000080
.long 0x804C4A4C
.long 0x824D4B4D
	;; [unrolled: 1-line block ×28, first 2 shown]
.long 0xBEBB00FF, 0x00020000
.long 0x924AFF32, 0x00000080
.long 0x92452C4A
.long 0x924AFF32, 0x00000100
.long 0xBEC6004A
.long 0x8F0A871F
	;; [unrolled: 1-line block ×9, first 2 shown]
.long 0xD1080001, 0x00006500
.long 0x6A02020A
.long 0xD0DA007E, 0x00006501
.long 0x68000081
.long 0x7E020280
	;; [unrolled: 1-line block ×9, first 2 shown]
.long 0x864CFF33, 0x00001F00
.long 0x8F4C884C
.long 0x864DFF33, 0x0000E000
.long 0x8633FF33, 0x000000FF
.long 0xBECA0033
.long 0x8E4B4C4A
	;; [unrolled: 1-line block ×13, first 2 shown]
.long 0xBF06FF4D, 0x00002000
.long 0xBF850002
.long 0xBECA0003
.long 0xBF820011
.long 0xBF06FF4D, 0x00004000
.long 0xBF850002
.long 0xBECA00C1
.long 0xBF82000C
	;; [unrolled: 4-line block ×3, first 2 shown]
.long 0x804A024A
.long 0xBF820005
.long 0xBF06FF4D, 0x00008000
.long 0xBF850002
.long 0xBECA00C1
	;; [unrolled: 1-line block ×32, first 2 shown]
.long 0xE0545000, 0x800D3632
.long 0xE0545000, 0x470D3A32
	;; [unrolled: 1-line block ×5, first 2 shown]
.long 0x804C810A
.long 0xBF064C40
	;; [unrolled: 1-line block ×22, first 2 shown]
.long 0xBE8E00FF, 0x80000000
.long 0xBE8F00FF, 0x00020000
.long 0xBE900022
.long 0xBE910023
.long 0xBE9200FF, 0x80000000
.long 0xBE9300FF, 0x00020000
.long 0x924C0390
.long 0x964B2A4C
	;; [unrolled: 1-line block ×42, first 2 shown]
.long 0xD3D94000, 0x18000080
.long 0xD3D94001, 0x18000080
.long 0xD3D94002, 0x18000080
.long 0xD3D94003, 0x18000080
.long 0xBF06800A
.long 0xBF840006
	;; [unrolled: 1-line block ×3, first 2 shown]
.long 0x814C84FF, 0x00000FA0
.long 0x804A4C4A
.long 0x824B804B
	;; [unrolled: 1-line block ×4, first 2 shown]
.long 0x7E98ACF9, 0x00040636
.long 0x7E6814F9, 0x0006144C
	;; [unrolled: 1-line block ×55, first 2 shown]
.long 0xBF06810A
.long 0xBF85000A
.long 0xE0545000, 0x800D3632
.long 0xE0545000, 0x470D3A32
	;; [unrolled: 1-line block ×5, first 2 shown]
.long 0xBF8CC07F
.long 0xBF8A0000
.long 0xD8780000, 0x00000048
.long 0xD8B60080, 0x10000048
	;; [unrolled: 1-line block ×5, first 2 shown]
.long 0xBF06810A
.long 0xBF850225
	;; [unrolled: 1-line block ×4, first 2 shown]
.long 0xD8780200, 0x02000048
.long 0xD8B60280, 0x12000048
	;; [unrolled: 1-line block ×5, first 2 shown]
.long 0xBF06400A
.long 0x854A4541
	;; [unrolled: 1-line block ×19, first 2 shown]
.long 0xD3CD8000, 0x04024100
.long 0xD8781080, 0x04000048
	;; [unrolled: 1-line block ×6, first 2 shown]
.long 0x80BE4A3E
.long 0xBF8CC57F
	;; [unrolled: 1-line block ×6, first 2 shown]
.long 0xD3CD8000, 0x04024502
.long 0xD8781280, 0x06000048
	;; [unrolled: 1-line block ×6, first 2 shown]
.long 0x82BF4B3F
.long 0xBF8CC57F
	;; [unrolled: 1-line block ×6, first 2 shown]
.long 0xD3CD8000, 0x04024904
.long 0xD8782100, 0x08000048
	;; [unrolled: 1-line block ×5, first 2 shown]
.long 0xBF06803F
.long 0xBF8CC47F
	;; [unrolled: 1-line block ×6, first 2 shown]
.long 0xD3CD8000, 0x04024D06
.long 0xD8782300, 0x0A000048
	;; [unrolled: 1-line block ×5, first 2 shown]
.long 0x853AC13E
.long 0xBF8C0F74
.long 0x7E98ACF9, 0x00040636
.long 0x7E6814F9, 0x0006144C
.long 0x7E6814F9, 0x0006154D
.long 0x7E98ACF9, 0x00050636
.long 0x7E6A14F9, 0x0006144C
.long 0x7E6A14F9, 0x0006154D
.long 0x7E98ACF9, 0x00040637
.long 0x7E6C14F9, 0x0006144C
.long 0x7E6C14F9, 0x0006154D
.long 0x7E98ACF9, 0x00050637
.long 0x7E6E14F9, 0x0006144C
.long 0x7E6E14F9, 0x0006154D
.long 0xD9BE0000, 0x00003430
.long 0xE0545000, 0x800D3632
.long 0xBF8C0F74
.long 0x7E98ACF9, 0x0004063A
.long 0x7E7014F9, 0x0006144C
.long 0x7E7014F9, 0x0006154D
.long 0x7E98ACF9, 0x0005063A
.long 0x7E7214F9, 0x0006144C
.long 0x7E7214F9, 0x0006154D
.long 0x7E98ACF9, 0x0004063B
.long 0x7E7414F9, 0x0006144C
.long 0x7E7414F9, 0x0006154D
.long 0x7E98ACF9, 0x0005063B
.long 0x7E7614F9, 0x0006144C
.long 0x7E7614F9, 0x0006154D
.long 0xD9BE0200, 0x00003830
.long 0xE0545000, 0x470D3A32
	;; [unrolled: 15-line block ×4, first 2 shown]
.long 0xBF8C0F74
.long 0xD9BE0000, 0x00004431
.long 0xE05C1000, 0x800E4433
	;; [unrolled: 1-line block ×4, first 2 shown]
.long 0xBF8CC97F
.long 0x28103108
	;; [unrolled: 1-line block ×5, first 2 shown]
.long 0xD3CD8000, 0x04025108
.long 0xD8783180, 0x0C000048
	;; [unrolled: 1-line block ×5, first 2 shown]
.long 0xBF8CC97F
.long 0x2814350A
	;; [unrolled: 1-line block ×5, first 2 shown]
.long 0xD3CD8000, 0x0402550A
.long 0xD8783380, 0x0E000048
	;; [unrolled: 1-line block ×7, first 2 shown]
.long 0xBF8CC47F
.long 0x2818390C
	;; [unrolled: 1-line block ×5, first 2 shown]
.long 0xD3CD8000, 0x0402590C
.long 0xBF8CC07F
.long 0xBF8A0000
.long 0xD8780000, 0x00000048
.long 0xD8B60080, 0x10000048
	;; [unrolled: 1-line block ×5, first 2 shown]
.long 0xBF8CC57F
.long 0x281C3D0E
.long 0x281E3F0F
.long 0xBF800000
.long 0xBF800000
.long 0xD3CD8000, 0x04025D0E
.long 0x808A810A
.long 0xBF00820A
	;; [unrolled: 1-line block ×3, first 2 shown]
.long 0xD8780200, 0x02000048
.long 0xD8B60280, 0x12000048
	;; [unrolled: 1-line block ×5, first 2 shown]
.long 0xBF06400A
.long 0x854A4541
	;; [unrolled: 1-line block ×19, first 2 shown]
.long 0xD3CD8000, 0x04024100
.long 0xD8781080, 0x04000048
	;; [unrolled: 1-line block ×6, first 2 shown]
.long 0x80BE4A3E
.long 0xBF8CC57F
	;; [unrolled: 1-line block ×6, first 2 shown]
.long 0xD3CD8000, 0x04024502
.long 0xD8781280, 0x06000048
	;; [unrolled: 1-line block ×6, first 2 shown]
.long 0x82BF4B3F
.long 0xBF8CC57F
	;; [unrolled: 1-line block ×6, first 2 shown]
.long 0xD3CD8000, 0x04024904
.long 0xD8782100, 0x08000048
	;; [unrolled: 1-line block ×5, first 2 shown]
.long 0xBF06803F
.long 0xBF8CC47F
	;; [unrolled: 1-line block ×6, first 2 shown]
.long 0xD3CD8000, 0x04024D06
.long 0xD8782300, 0x0A000048
	;; [unrolled: 1-line block ×5, first 2 shown]
.long 0x853AC13E
.long 0xBF8C0F74
.long 0x7E98ACF9, 0x00040636
.long 0x7E6814F9, 0x0006144C
.long 0x7E6814F9, 0x0006154D
.long 0x7E98ACF9, 0x00050636
.long 0x7E6A14F9, 0x0006144C
.long 0x7E6A14F9, 0x0006154D
.long 0x7E98ACF9, 0x00040637
.long 0x7E6C14F9, 0x0006144C
.long 0x7E6C14F9, 0x0006154D
.long 0x7E98ACF9, 0x00050637
.long 0x7E6E14F9, 0x0006144C
.long 0x7E6E14F9, 0x0006154D
.long 0xD9BE0000, 0x00003430
.long 0xBF8C0F73
.long 0x7E98ACF9, 0x0004063A
.long 0x7E7014F9, 0x0006144C
.long 0x7E7014F9, 0x0006154D
.long 0x7E98ACF9, 0x0005063A
.long 0x7E7214F9, 0x0006144C
.long 0x7E7214F9, 0x0006154D
.long 0x7E98ACF9, 0x0004063B
.long 0x7E7414F9, 0x0006144C
.long 0x7E7414F9, 0x0006154D
.long 0x7E98ACF9, 0x0005063B
.long 0x7E7614F9, 0x0006144C
.long 0x7E7614F9, 0x0006154D
.long 0xD9BE0200, 0x00003830
	;; [unrolled: 14-line block ×4, first 2 shown]
.long 0xBF8C0F70
.long 0xD9BE0000, 0x00004431
.long 0x2A6060FF, 0x00008000
	;; [unrolled: 1-line block ×3, first 2 shown]
.long 0xBF8CC97F
.long 0x28103108
	;; [unrolled: 1-line block ×5, first 2 shown]
.long 0xD3CD8000, 0x04025108
.long 0xD8783180, 0x0C000048
	;; [unrolled: 1-line block ×5, first 2 shown]
.long 0xBF8CC97F
.long 0x2814350A
	;; [unrolled: 1-line block ×5, first 2 shown]
.long 0xD3CD8000, 0x0402550A
.long 0xD8783380, 0x0E000048
	;; [unrolled: 1-line block ×7, first 2 shown]
.long 0xBF8CC47F
.long 0x2818390C
	;; [unrolled: 1-line block ×5, first 2 shown]
.long 0xD3CD8000, 0x0402590C
.long 0xBF8CC07F
.long 0xBF8A0000
.long 0xD8780000, 0x00000048
.long 0xD8B60080, 0x10000048
	;; [unrolled: 1-line block ×5, first 2 shown]
.long 0xBF8CC57F
.long 0x281C3D0E
.long 0x281E3F0F
.long 0xBF800000
.long 0xBF800000
.long 0xD3CD8000, 0x04025D0E
.long 0xBF068132
.long 0xBF8400BE
	;; [unrolled: 1-line block ×18, first 2 shown]
.long 0x864B1FFF, 0x0000007F
.long 0xBF06804B
.long 0xBF8400AA
.long 0xD8780200, 0x02000048
.long 0xD8B60280, 0x12000048
.long 0xD8780300, 0x03000048
.long 0xD8B60380, 0x13000048
.long 0xD9FE0040, 0x24000049
.long 0xBF8CC57F
.long 0x28002100
.long 0x28022301
.long 0xBF800000
.long 0xBF800000
.long 0xD3CD8000, 0x04024100
.long 0xD8781080, 0x04000048
.long 0xD8B61100, 0x14000048
.long 0xD8781180, 0x05000048
.long 0xD8B61200, 0x15000048
.long 0xD9FE0080, 0x28000049
.long 0xBF8CC57F
.long 0x28042502
.long 0x28062703
.long 0xBF800000
.long 0xBF800000
.long 0xD3CD8000, 0x04024502
	;; [unrolled: 11-line block ×3, first 2 shown]
.long 0xD8782100, 0x08000048
.long 0xD8B62180, 0x18000048
.long 0xD8782200, 0x09000048
.long 0xD8B62280, 0x19000048
.long 0xBF8CC47F
.long 0x280C2D06
.long 0x280E2F07
.long 0xBF800000
.long 0xBF800000
.long 0xD3CD8000, 0x04024D06
.long 0xD8782300, 0x0A000048
.long 0xD8B62380, 0x1A000048
.long 0xD8782400, 0x0B000048
.long 0xD8B62480, 0x1B000048
.long 0xBF8CC47F
.long 0x28103108
.long 0x28123309
.long 0xBF800000
.long 0xBF800000
.long 0xD3CD8000, 0x04025108
	;; [unrolled: 10-line block ×4, first 2 shown]
.long 0xBF8CC07F
.long 0x281C3D0E
	;; [unrolled: 1-line block ×5, first 2 shown]
.long 0xD3CD8000, 0x04025D0E
.long 0xC00A0D00, 0x0000005C
.long 0x20089486
.long 0x20020882
.long 0xD2850001, 0x00020290
.long 0x260A948F
.long 0xD1FE0001, 0x02020305
.long 0xD2850002, 0x00005501
	;; [unrolled: 1-line block ×3, first 2 shown]
.long 0x260A0883
.long 0xD2850005, 0x00020A90
.long 0x260094BF
.long 0x20000084
	;; [unrolled: 1-line block ×3, first 2 shown]
.long 0xD1FE0000, 0x02020105
.long 0x923302C0
.long 0x68000033
	;; [unrolled: 1-line block ×5, first 2 shown]
.long 0xD1FE0006, 0x02060103
.long 0xD3D84008, 0x18000100
	;; [unrolled: 1-line block ×5, first 2 shown]
.long 0xBF800001
.long 0xBF800000
	;; [unrolled: 1-line block ×4, first 2 shown]
.long 0xD2A00008, 0x00021308
.long 0x7E14150A
.long 0x7E16150B
.long 0xD2A00009, 0x0002170A
.long 0xE074D000, 0x80030806
.long 0xBF800000
.long 0xBF800000
	;; [unrolled: 1-line block ×4, first 2 shown]
.long 0xD8780200, 0x02000048
.long 0xD8B60280, 0x12000048
.long 0xD8780300, 0x03000048
.long 0xD8B60380, 0x13000048
.long 0xD9FE0040, 0x24000049
.long 0xBF8CC57F
.long 0x28002100
.long 0x28022301
.long 0xBF800000
.long 0xBF800000
.long 0xD3CD8000, 0x04024100
.long 0xD8781080, 0x04000048
.long 0xD8B61100, 0x14000048
.long 0xD8781180, 0x05000048
.long 0xD8B61200, 0x15000048
.long 0xD9FE0080, 0x28000049
.long 0xBF8CC57F
.long 0x28042502
.long 0x28062703
.long 0xBF800000
.long 0xBF800000
.long 0xD3CD8000, 0x04024502
	;; [unrolled: 11-line block ×3, first 2 shown]
.long 0xD8782100, 0x08000048
.long 0xD8B62180, 0x18000048
.long 0xD8782200, 0x09000048
.long 0xD8B62280, 0x19000048
.long 0xBF8CC47F
.long 0x280C2D06
.long 0x280E2F07
.long 0xBF800000
.long 0xBF800000
.long 0xD3CD8000, 0x04024D06
.long 0xD8782300, 0x0A000048
.long 0xD8B62380, 0x1A000048
.long 0xD8782400, 0x0B000048
.long 0xD8B62480, 0x1B000048
.long 0xBF8CC47F
.long 0x28103108
.long 0x28123309
.long 0xBF800000
.long 0xBF800000
.long 0xD3CD8000, 0x04025108
	;; [unrolled: 10-line block ×4, first 2 shown]
.long 0xBF8CC07F
.long 0x281C3D0E
	;; [unrolled: 1-line block ×5, first 2 shown]
.long 0xD3CD8000, 0x04025D0E
.long 0x266060FF, 0x00F07FFF
	;; [unrolled: 1-line block ×4, first 2 shown]
.long 0xBF070706
.long 0xBE8A0280
	;; [unrolled: 1-line block ×27, first 2 shown]
.long 0xE0805000, 0x800D3632
.long 0xE0805001, 0x800D0032
.long 0xE0845002, 0x800D0132
.long 0xE0845003, 0x800D0232
.long 0xE0805004, 0x800D3732
.long 0xE0805005, 0x800D0432
.long 0xE0845006, 0x800D0532
.long 0xE0845007, 0x800D0632
.long 0xBF8C0F76
.long 0x24000088
.long 0x286C0136
.long 0xBF8C0F75
.long 0x286C0336
.long 0xBF8C0F74
.long 0x24040488
.long 0x286C0536
.long 0xBF8C0F72
.long 0x24080888
.long 0x286E0937
.long 0xBF8C0F71
.long 0x286E0B37
.long 0xBF8C0F70
.long 0x240C0C88
.long 0x286E0D37
.long 0xE0805000, 0x470D3A32
.long 0xE0805001, 0x470D0032
.long 0xE0845002, 0x470D0132
.long 0xE0845003, 0x470D0232
.long 0xE0805004, 0x470D3B32
.long 0xE0805005, 0x470D0432
.long 0xE0845006, 0x470D0532
.long 0xE0845007, 0x470D0632
.long 0xBF8C0F76
.long 0x24000088
.long 0x2874013A
.long 0xBF8C0F75
.long 0x2874033A
.long 0xBF8C0F74
.long 0x24040488
.long 0x2874053A
.long 0xBF8C0F72
.long 0x24080888
.long 0x2876093B
.long 0xBF8C0F71
.long 0x28760B3B
.long 0xBF8C0F70
.long 0x240C0C88
.long 0x28760D3B
	;; [unrolled: 24-line block ×4, first 2 shown]
.long 0xE0501000, 0x800E4433
.long 0xE0501004, 0x800E4533
	;; [unrolled: 1-line block ×4, first 2 shown]
.long 0xBF8C0F70
.long 0xBF8A0000
.long 0x7E00ACF9, 0x00040636
.long 0x7E6814F9, 0x00061400
.long 0x7E6814F9, 0x00061501
.long 0x7E00ACF9, 0x00050636
.long 0x7E6A14F9, 0x00061400
.long 0x7E6A14F9, 0x00061501
.long 0x7E00ACF9, 0x00040637
.long 0x7E6C14F9, 0x00061400
.long 0x7E6C14F9, 0x00061501
.long 0x7E00ACF9, 0x00050637
.long 0x7E6E14F9, 0x00061400
.long 0x7E6E14F9, 0x00061501
.long 0xD9BE0000, 0x00003430
.long 0x7E00ACF9, 0x0004063A
.long 0x7E7014F9, 0x00061400
.long 0x7E7014F9, 0x00061501
.long 0x7E00ACF9, 0x0005063A
.long 0x7E7214F9, 0x00061400
.long 0x7E7214F9, 0x00061501
.long 0x7E00ACF9, 0x0004063B
.long 0x7E7414F9, 0x00061400
.long 0x7E7414F9, 0x00061501
.long 0x7E00ACF9, 0x0005063B
.long 0x7E7614F9, 0x00061400
.long 0x7E7614F9, 0x00061501
.long 0xD9BE0200, 0x00003830
.long 0x7E00ACF9, 0x0004063E
.long 0x7E7814F9, 0x00061400
.long 0x7E7814F9, 0x00061501
.long 0x7E00ACF9, 0x0005063E
.long 0x7E7A14F9, 0x00061400
.long 0x7E7A14F9, 0x00061501
.long 0x7E00ACF9, 0x0004063F
.long 0x7E7C14F9, 0x00061400
.long 0x7E7C14F9, 0x00061501
.long 0x7E00ACF9, 0x0005063F
.long 0x7E7E14F9, 0x00061400
.long 0x7E7E14F9, 0x00061501
.long 0xD9BE0420, 0x00003C30
.long 0x7E00ACF9, 0x00040642
.long 0x7E8014F9, 0x00061400
.long 0x7E8014F9, 0x00061501
.long 0x7E00ACF9, 0x00050642
.long 0x7E8214F9, 0x00061400
.long 0x7E8214F9, 0x00061501
.long 0x7E00ACF9, 0x00040643
.long 0x7E8414F9, 0x00061400
.long 0x7E8414F9, 0x00061501
.long 0x7E00ACF9, 0x00050643
.long 0x7E8614F9, 0x00061400
.long 0x7E8614F9, 0x00061501
.long 0xD9BE0620, 0x00004030
.long 0xD9BE0000, 0x00004431
.long 0x260294BF
.long 0x2600028F
	;; [unrolled: 1-line block ×27, first 2 shown]
.long 0xD2850002, 0x00020405
.long 0xD1FE0048, 0x02060102
.long 0x2006908A
.long 0x24060685
	;; [unrolled: 1-line block ×5, first 2 shown]
.long 0xD2850000, 0x00020005
.long 0xD1FE0049, 0x02060300
.long 0x20049288
.long 0x24040485
	;; [unrolled: 1-line block ×3, first 2 shown]
.long 0x329292FF, 0x00004200
.long 0xBF8CC07F
.long 0xBF8A0000
.long 0x269090FF, 0x00007FFF
.long 0x269292FF, 0x00007FFF
	;; [unrolled: 1-line block ×8, first 2 shown]
.long 0x32909005
.long 0xBE8500A0
	;; [unrolled: 1-line block ×9, first 2 shown]
.long 0xD0C6004A, 0x00001530
.long 0xD1000000, 0x01290100
.long 0xD1000001, 0x01290101
.long 0xD1000020, 0x01290120
.long 0xD1000021, 0x01290121
.long 0xBF800001
.long 0xD3CD8000, 0x04024100
.long 0x818A900A
.long 0x800B900B
	;; [unrolled: 1-line block ×4, first 2 shown]
.long 0xC00A0D00, 0x0000005C
.long 0x20089486
.long 0x20020882
.long 0xD2850001, 0x00020290
.long 0x260A948F
.long 0xD1FE0001, 0x02020305
.long 0xD2850002, 0x00005501
	;; [unrolled: 1-line block ×3, first 2 shown]
.long 0x260A0883
.long 0xD2850005, 0x00020A90
.long 0x260094BF
.long 0x20000084
	;; [unrolled: 1-line block ×3, first 2 shown]
.long 0xD1FE0000, 0x02020105
.long 0x923302C0
.long 0x68000033
	;; [unrolled: 1-line block ×8, first 2 shown]
.long 0x813E84FF, 0x00003E24
.long 0x803C3E3C
.long 0x823D803D
	;; [unrolled: 1-line block ×3, first 2 shown]
.long 0xBEBB00FF, 0x00020000
.long 0xBEBA00FF, 0x80000000
.long 0x92330390
.long 0x963D2A33
	;; [unrolled: 1-line block ×25, first 2 shown]
.long 0xD1FE0006, 0x020A0103
.long 0xD1FE0007, 0x02060103
	;; [unrolled: 1-line block ×6, first 2 shown]
.long 0xBF800001
.long 0xE07CD000, 0x80030C06
.long 0xBF800000
.long 0x923F1415
	;; [unrolled: 1-line block ×16, first 2 shown]
.long 0xC2330CCC, 0x00000000
.long 0x9645811C
.long 0x9244811C
	;; [unrolled: 1-line block ×15, first 2 shown]
.long 0x7E1202FF, 0x80000000
.long 0xBEC40016
.long 0xBEC50017
	;; [unrolled: 1-line block ×9, first 2 shown]
.long 0xD2850001, 0x00020290
.long 0x260A94BF
.long 0x200A0A82
	;; [unrolled: 1-line block ×3, first 2 shown]
.long 0xD2850002, 0x00005501
.long 0xD2850003, 0x00005101
.long 0x260A0883
.long 0xD2850005, 0x00020A90
.long 0x26009483
.long 0x24000082
	;; [unrolled: 1-line block ×7, first 2 shown]
.long 0xD1FE0006, 0x020A0103
.long 0xD1FE0007, 0x02060103
	;; [unrolled: 1-line block ×3, first 2 shown]
.long 0xBE850032
.long 0x81858105
	;; [unrolled: 1-line block ×6, first 2 shown]
.long 0xE05CD000, 0x80114C06
.long 0x81858105
.long 0x80444044
.long 0x82454145
.long 0xBF008005
.long 0xBF850364
.long 0xE05CD000, 0x80115006
.long 0x81858105
.long 0x80444044
.long 0x82454145
.long 0xBF008005
.long 0xBF850352
	;; [unrolled: 6-line block ×14, first 2 shown]
.long 0xE05CD000, 0x80118406
.long 0xBF8C0F7E
.long 0xD3B2400C, 0x1802990C
.long 0xD3B2400E, 0x18029D0E
.long 0x81858105
.long 0xBF05CE05
.long 0xBF850305
.long 0x80444044
.long 0x82454145
.long 0xD0C60042, 0x00000A80
.long 0xD100000A, 0x010A1306
.long 0xE05CD000, 0x80114C0A
.long 0xBF8C0F7E
.long 0xD3B2400C, 0x1802A10C
.long 0xD3B2400E, 0x1802A50E
.long 0x81858105
.long 0xBF05CE05
.long 0xBF8502F5
.long 0x80444044
.long 0x82454145
.long 0xD0C60042, 0x00000A80
.long 0xD100000A, 0x010A1306
	;; [unrolled: 11-line block ×15, first 2 shown]
.long 0xE05CD000, 0x8011840A
.long 0xBF02CE05
.long 0xBF85FF0E
	;; [unrolled: 1-line block ×3, first 2 shown]
.long 0xD3B2400C, 0x1802990C
.long 0xD3B2400E, 0x18029D0E
.long 0xBF8C0F7C
.long 0xD3B2400C, 0x1802A10C
.long 0xD3B2400E, 0x1802A50E
.long 0xBF8C0F7B
	;; [unrolled: 3-line block ×14, first 2 shown]
.long 0xBF8C0F7C
.long 0xD3B2400C, 0x1802990C
.long 0xD3B2400E, 0x18029D0E
.long 0xBF8C0F7B
.long 0xD3B2400C, 0x1802A10C
.long 0xD3B2400E, 0x1802A50E
	;; [unrolled: 3-line block ×13, first 2 shown]
.long 0xBF820192
.long 0xBF8C0F7B
.long 0xD3B2400C, 0x1802990C
.long 0xD3B2400E, 0x18029D0E
.long 0xBF8C0F7A
.long 0xD3B2400C, 0x1802A10C
.long 0xD3B2400E, 0x1802A50E
	;; [unrolled: 3-line block ×12, first 2 shown]
.long 0xBF820155
.long 0xBF8C0F7A
.long 0xD3B2400C, 0x1802990C
.long 0xD3B2400E, 0x18029D0E
.long 0xBF8C0F79
.long 0xD3B2400C, 0x1802A10C
.long 0xD3B2400E, 0x1802A50E
	;; [unrolled: 3-line block ×11, first 2 shown]
.long 0xBF82011D
.long 0xBF8C0F79
.long 0xD3B2400C, 0x1802990C
.long 0xD3B2400E, 0x18029D0E
.long 0xBF8C0F78
.long 0xD3B2400C, 0x1802A10C
.long 0xD3B2400E, 0x1802A50E
	;; [unrolled: 3-line block ×10, first 2 shown]
.long 0xBF8200EA
.long 0xBF8C0F78
.long 0xD3B2400C, 0x1802990C
.long 0xD3B2400E, 0x18029D0E
.long 0xBF8C0F77
.long 0xD3B2400C, 0x1802A10C
.long 0xD3B2400E, 0x1802A50E
	;; [unrolled: 3-line block ×9, first 2 shown]
.long 0xBF8200BC
.long 0xBF8C0F77
.long 0xD3B2400C, 0x1802990C
.long 0xD3B2400E, 0x18029D0E
.long 0xBF8C0F76
.long 0xD3B2400C, 0x1802A10C
.long 0xD3B2400E, 0x1802A50E
	;; [unrolled: 3-line block ×8, first 2 shown]
.long 0xBF820093
.long 0xBF8C0F76
.long 0xD3B2400C, 0x1802990C
.long 0xD3B2400E, 0x18029D0E
.long 0xBF8C0F75
.long 0xD3B2400C, 0x1802A10C
.long 0xD3B2400E, 0x1802A50E
	;; [unrolled: 3-line block ×7, first 2 shown]
.long 0xBF82006F
.long 0xBF8C0F75
.long 0xD3B2400C, 0x1802990C
.long 0xD3B2400E, 0x18029D0E
.long 0xBF8C0F74
.long 0xD3B2400C, 0x1802A10C
.long 0xD3B2400E, 0x1802A50E
	;; [unrolled: 3-line block ×6, first 2 shown]
.long 0xBF820050
.long 0xBF8C0F74
.long 0xD3B2400C, 0x1802990C
.long 0xD3B2400E, 0x18029D0E
.long 0xBF8C0F73
.long 0xD3B2400C, 0x1802A10C
.long 0xD3B2400E, 0x1802A50E
	;; [unrolled: 3-line block ×5, first 2 shown]
.long 0xBF820036
.long 0xBF8C0F73
.long 0xD3B2400C, 0x1802990C
.long 0xD3B2400E, 0x18029D0E
.long 0xBF8C0F72
.long 0xD3B2400C, 0x1802A10C
.long 0xD3B2400E, 0x1802A50E
	;; [unrolled: 3-line block ×4, first 2 shown]
.long 0xBF820021
.long 0xBF8C0F72
.long 0xD3B2400C, 0x1802990C
.long 0xD3B2400E, 0x18029D0E
.long 0xBF8C0F71
.long 0xD3B2400C, 0x1802A10C
.long 0xD3B2400E, 0x1802A50E
	;; [unrolled: 3-line block ×3, first 2 shown]
.long 0xBF820011
.long 0xBF8C0F71
.long 0xD3B2400C, 0x1802990C
.long 0xD3B2400E, 0x18029D0E
.long 0xBF8C0F70
.long 0xD3B2400C, 0x1802A10C
.long 0xD3B2400E, 0x1802A50E
.long 0xBF820006
.long 0xBF8C0F70
.long 0xD3B2400C, 0x1802990C
.long 0xD3B2400E, 0x18029D0E
.long 0xBF820000
.long 0x0A181830
	;; [unrolled: 1-line block ×7, first 2 shown]
.long 0xD2A0000C, 0x00021B0C
.long 0x7E1C150E
.long 0x7E1E150F
.long 0xD2A0000D, 0x00021F0E
.long 0xE074D000, 0x800E0C07
.long 0xBF800000
.long 0xBF800000
	;; [unrolled: 1-line block ×3, first 2 shown]
.long 0x7E1802FF, 0x80000000
.long 0xD0C9003C, 0x00003900
	;; [unrolled: 1-line block ×3, first 2 shown]
.long 0x86C0403C
.long 0xD1FE0006, 0x020A0103
.long 0xD1000006, 0x01020D0C
	;; [unrolled: 1-line block ×8, first 2 shown]
.long 0xBF800001
.long 0xE07CD000, 0x80030806
.long 0xBF800000
.long 0x92431415
	;; [unrolled: 1-line block ×16, first 2 shown]
.long 0xC2330CCC, 0x00000000
.long 0x9649811C
.long 0x9248811C
	;; [unrolled: 1-line block ×15, first 2 shown]
.long 0x7E1802FF, 0x80000000
.long 0xBEC80016
.long 0xBEC90017
	;; [unrolled: 1-line block ×7, first 2 shown]
.long 0xE05CD000, 0x80120806
.long 0xBE850032
.long 0x81858105
.long 0x80484448
.long 0x82494549
.long 0xBF008005
.long 0xBF850371
.long 0xE05CD000, 0x80124C06
.long 0x81858105
.long 0x80484448
.long 0x82494549
.long 0xBF008005
.long 0xBF850364
.long 0xE05CD000, 0x80125006
.long 0x81858105
.long 0x80484448
.long 0x82494549
.long 0xBF008005
.long 0xBF850352
	;; [unrolled: 6-line block ×14, first 2 shown]
.long 0xE05CD000, 0x80128406
.long 0xBF8C0F7E
.long 0xD3B24008, 0x18029908
.long 0xD3B2400A, 0x18029D0A
.long 0x81858105
.long 0xBF05CE05
.long 0xBF850305
.long 0x80484448
.long 0x82494549
.long 0xD0C60046, 0x00000A80
.long 0xD100000D, 0x011A1906
.long 0xE05CD000, 0x80124C0D
.long 0xBF8C0F7E
.long 0xD3B24008, 0x1802A108
.long 0xD3B2400A, 0x1802A50A
.long 0x81858105
.long 0xBF05CE05
.long 0xBF8502F5
.long 0x80484448
.long 0x82494549
.long 0xD0C60046, 0x00000A80
.long 0xD100000D, 0x011A1906
	;; [unrolled: 11-line block ×15, first 2 shown]
.long 0xE05CD000, 0x8012840D
.long 0xBF02CE05
.long 0xBF85FF0E
	;; [unrolled: 1-line block ×3, first 2 shown]
.long 0xD3B24008, 0x18029908
.long 0xD3B2400A, 0x18029D0A
.long 0xBF8C0F7C
.long 0xD3B24008, 0x1802A108
.long 0xD3B2400A, 0x1802A50A
.long 0xBF8C0F7B
	;; [unrolled: 3-line block ×14, first 2 shown]
.long 0xBF8C0F7C
.long 0xD3B24008, 0x18029908
.long 0xD3B2400A, 0x18029D0A
.long 0xBF8C0F7B
.long 0xD3B24008, 0x1802A108
.long 0xD3B2400A, 0x1802A50A
	;; [unrolled: 3-line block ×13, first 2 shown]
.long 0xBF820192
.long 0xBF8C0F7B
.long 0xD3B24008, 0x18029908
.long 0xD3B2400A, 0x18029D0A
.long 0xBF8C0F7A
.long 0xD3B24008, 0x1802A108
.long 0xD3B2400A, 0x1802A50A
.long 0xBF8C0F79
.long 0xD3B24008, 0x1802A908
.long 0xD3B2400A, 0x1802AD0A
.long 0xBF8C0F78
.long 0xD3B24008, 0x1802B108
.long 0xD3B2400A, 0x1802B50A
.long 0xBF8C0F77
.long 0xD3B24008, 0x1802B908
.long 0xD3B2400A, 0x1802BD0A
.long 0xBF8C0F76
.long 0xD3B24008, 0x1802C108
.long 0xD3B2400A, 0x1802C50A
.long 0xBF8C0F75
.long 0xD3B24008, 0x1802C908
.long 0xD3B2400A, 0x1802CD0A
.long 0xBF8C0F74
.long 0xD3B24008, 0x1802D108
.long 0xD3B2400A, 0x1802D50A
.long 0xBF8C0F73
.long 0xD3B24008, 0x1802D908
.long 0xD3B2400A, 0x1802DD0A
.long 0xBF8C0F72
.long 0xD3B24008, 0x1802E108
.long 0xD3B2400A, 0x1802E50A
.long 0xBF8C0F71
.long 0xD3B24008, 0x1802E908
.long 0xD3B2400A, 0x1802ED0A
.long 0xBF8C0F70
.long 0xD3B24008, 0x1802F108
.long 0xD3B2400A, 0x1802F50A
.long 0xBF820155
.long 0xBF8C0F7A
.long 0xD3B24008, 0x18029908
.long 0xD3B2400A, 0x18029D0A
.long 0xBF8C0F79
.long 0xD3B24008, 0x1802A108
.long 0xD3B2400A, 0x1802A50A
	;; [unrolled: 3-line block ×11, first 2 shown]
.long 0xBF82011D
.long 0xBF8C0F79
.long 0xD3B24008, 0x18029908
.long 0xD3B2400A, 0x18029D0A
.long 0xBF8C0F78
.long 0xD3B24008, 0x1802A108
.long 0xD3B2400A, 0x1802A50A
.long 0xBF8C0F77
.long 0xD3B24008, 0x1802A908
.long 0xD3B2400A, 0x1802AD0A
.long 0xBF8C0F76
.long 0xD3B24008, 0x1802B108
.long 0xD3B2400A, 0x1802B50A
.long 0xBF8C0F75
.long 0xD3B24008, 0x1802B908
.long 0xD3B2400A, 0x1802BD0A
.long 0xBF8C0F74
.long 0xD3B24008, 0x1802C108
.long 0xD3B2400A, 0x1802C50A
.long 0xBF8C0F73
.long 0xD3B24008, 0x1802C908
.long 0xD3B2400A, 0x1802CD0A
.long 0xBF8C0F72
.long 0xD3B24008, 0x1802D108
.long 0xD3B2400A, 0x1802D50A
.long 0xBF8C0F71
.long 0xD3B24008, 0x1802D908
.long 0xD3B2400A, 0x1802DD0A
.long 0xBF8C0F70
.long 0xD3B24008, 0x1802E108
.long 0xD3B2400A, 0x1802E50A
.long 0xBF8200EA
.long 0xBF8C0F78
.long 0xD3B24008, 0x18029908
.long 0xD3B2400A, 0x18029D0A
.long 0xBF8C0F77
.long 0xD3B24008, 0x1802A108
.long 0xD3B2400A, 0x1802A50A
	;; [unrolled: 3-line block ×9, first 2 shown]
.long 0xBF8200BC
.long 0xBF8C0F77
.long 0xD3B24008, 0x18029908
.long 0xD3B2400A, 0x18029D0A
.long 0xBF8C0F76
.long 0xD3B24008, 0x1802A108
.long 0xD3B2400A, 0x1802A50A
	;; [unrolled: 3-line block ×8, first 2 shown]
.long 0xBF820093
.long 0xBF8C0F76
.long 0xD3B24008, 0x18029908
.long 0xD3B2400A, 0x18029D0A
.long 0xBF8C0F75
.long 0xD3B24008, 0x1802A108
.long 0xD3B2400A, 0x1802A50A
	;; [unrolled: 3-line block ×7, first 2 shown]
.long 0xBF82006F
.long 0xBF8C0F75
.long 0xD3B24008, 0x18029908
.long 0xD3B2400A, 0x18029D0A
.long 0xBF8C0F74
.long 0xD3B24008, 0x1802A108
.long 0xD3B2400A, 0x1802A50A
	;; [unrolled: 3-line block ×6, first 2 shown]
.long 0xBF820050
.long 0xBF8C0F74
.long 0xD3B24008, 0x18029908
.long 0xD3B2400A, 0x18029D0A
.long 0xBF8C0F73
.long 0xD3B24008, 0x1802A108
.long 0xD3B2400A, 0x1802A50A
	;; [unrolled: 3-line block ×5, first 2 shown]
.long 0xBF820036
.long 0xBF8C0F73
.long 0xD3B24008, 0x18029908
.long 0xD3B2400A, 0x18029D0A
.long 0xBF8C0F72
.long 0xD3B24008, 0x1802A108
.long 0xD3B2400A, 0x1802A50A
.long 0xBF8C0F71
.long 0xD3B24008, 0x1802A908
.long 0xD3B2400A, 0x1802AD0A
.long 0xBF8C0F70
.long 0xD3B24008, 0x1802B108
.long 0xD3B2400A, 0x1802B50A
.long 0xBF820021
.long 0xBF8C0F72
.long 0xD3B24008, 0x18029908
.long 0xD3B2400A, 0x18029D0A
.long 0xBF8C0F71
.long 0xD3B24008, 0x1802A108
.long 0xD3B2400A, 0x1802A50A
	;; [unrolled: 3-line block ×3, first 2 shown]
.long 0xBF820011
.long 0xBF8C0F71
.long 0xD3B24008, 0x18029908
.long 0xD3B2400A, 0x18029D0A
.long 0xBF8C0F70
.long 0xD3B24008, 0x1802A108
.long 0xD3B2400A, 0x1802A50A
.long 0xBF820006
.long 0xBF8C0F70
.long 0xD3B24008, 0x18029908
.long 0xD3B2400A, 0x18029D0A
.long 0xBF820000
.long 0x0A101030
	;; [unrolled: 1-line block ×7, first 2 shown]
.long 0xD2A00008, 0x00021308
.long 0x7E14150A
.long 0x7E16150B
.long 0xD2A00009, 0x0002170A
.long 0xE074D000, 0x800E0807
.long 0xBF800000
.long 0xBF800000
	;; [unrolled: 1-line block ×15, first 2 shown]
.long 0xD1FE0008, 0x02060102
.long 0xE0541000, 0x80040C08
	;; [unrolled: 1-line block ×8, first 2 shown]
.long 0xBF800001
.long 0xE07CD000, 0x80031006
.long 0xBF800000
.long 0x923F1415
	;; [unrolled: 1-line block ×16, first 2 shown]
.long 0xC2330CCC, 0x00000000
.long 0x9645811C
.long 0x9244811C
	;; [unrolled: 1-line block ×15, first 2 shown]
.long 0x7E1202FF, 0x80000000
.long 0xBEC40016
.long 0xBEC50017
	;; [unrolled: 1-line block ×7, first 2 shown]
.long 0xE05CD000, 0x80111006
.long 0xBE850032
.long 0x81858105
	;; [unrolled: 1-line block ×6, first 2 shown]
.long 0xE05CD000, 0x80114C06
.long 0x81858105
.long 0x80444044
.long 0x82454145
.long 0xBF008005
.long 0xBF850364
.long 0xE05CD000, 0x80115006
.long 0x81858105
.long 0x80444044
.long 0x82454145
.long 0xBF008005
.long 0xBF850352
	;; [unrolled: 6-line block ×14, first 2 shown]
.long 0xE05CD000, 0x80118406
.long 0xBF8C0F7E
.long 0xD3B24010, 0x18029910
.long 0xD3B24012, 0x18029D12
.long 0x81858105
.long 0xBF05CE05
.long 0xBF850305
.long 0x80444044
.long 0x82454145
.long 0xD0C60042, 0x00000A80
.long 0xD100000A, 0x010A1306
.long 0xE05CD000, 0x80114C0A
.long 0xBF8C0F7E
.long 0xD3B24010, 0x1802A110
.long 0xD3B24012, 0x1802A512
.long 0x81858105
.long 0xBF05CE05
.long 0xBF8502F5
.long 0x80444044
.long 0x82454145
.long 0xD0C60042, 0x00000A80
.long 0xD100000A, 0x010A1306
	;; [unrolled: 11-line block ×15, first 2 shown]
.long 0xE05CD000, 0x8011840A
.long 0xBF02CE05
.long 0xBF85FF0E
	;; [unrolled: 1-line block ×3, first 2 shown]
.long 0xD3B24010, 0x18029910
.long 0xD3B24012, 0x18029D12
.long 0xBF8C0F7C
.long 0xD3B24010, 0x1802A110
.long 0xD3B24012, 0x1802A512
.long 0xBF8C0F7B
	;; [unrolled: 3-line block ×14, first 2 shown]
.long 0xBF8C0F7C
.long 0xD3B24010, 0x18029910
.long 0xD3B24012, 0x18029D12
.long 0xBF8C0F7B
.long 0xD3B24010, 0x1802A110
.long 0xD3B24012, 0x1802A512
	;; [unrolled: 3-line block ×13, first 2 shown]
.long 0xBF820192
.long 0xBF8C0F7B
.long 0xD3B24010, 0x18029910
.long 0xD3B24012, 0x18029D12
.long 0xBF8C0F7A
.long 0xD3B24010, 0x1802A110
.long 0xD3B24012, 0x1802A512
	;; [unrolled: 3-line block ×12, first 2 shown]
.long 0xBF820155
.long 0xBF8C0F7A
.long 0xD3B24010, 0x18029910
.long 0xD3B24012, 0x18029D12
.long 0xBF8C0F79
.long 0xD3B24010, 0x1802A110
.long 0xD3B24012, 0x1802A512
	;; [unrolled: 3-line block ×11, first 2 shown]
.long 0xBF82011D
.long 0xBF8C0F79
.long 0xD3B24010, 0x18029910
.long 0xD3B24012, 0x18029D12
.long 0xBF8C0F78
.long 0xD3B24010, 0x1802A110
.long 0xD3B24012, 0x1802A512
	;; [unrolled: 3-line block ×10, first 2 shown]
.long 0xBF8200EA
.long 0xBF8C0F78
.long 0xD3B24010, 0x18029910
.long 0xD3B24012, 0x18029D12
.long 0xBF8C0F77
.long 0xD3B24010, 0x1802A110
.long 0xD3B24012, 0x1802A512
	;; [unrolled: 3-line block ×9, first 2 shown]
.long 0xBF8200BC
.long 0xBF8C0F77
.long 0xD3B24010, 0x18029910
.long 0xD3B24012, 0x18029D12
.long 0xBF8C0F76
.long 0xD3B24010, 0x1802A110
.long 0xD3B24012, 0x1802A512
	;; [unrolled: 3-line block ×8, first 2 shown]
.long 0xBF820093
.long 0xBF8C0F76
.long 0xD3B24010, 0x18029910
.long 0xD3B24012, 0x18029D12
.long 0xBF8C0F75
.long 0xD3B24010, 0x1802A110
.long 0xD3B24012, 0x1802A512
	;; [unrolled: 3-line block ×7, first 2 shown]
.long 0xBF82006F
.long 0xBF8C0F75
.long 0xD3B24010, 0x18029910
.long 0xD3B24012, 0x18029D12
.long 0xBF8C0F74
.long 0xD3B24010, 0x1802A110
.long 0xD3B24012, 0x1802A512
	;; [unrolled: 3-line block ×6, first 2 shown]
.long 0xBF820050
.long 0xBF8C0F74
.long 0xD3B24010, 0x18029910
.long 0xD3B24012, 0x18029D12
.long 0xBF8C0F73
.long 0xD3B24010, 0x1802A110
.long 0xD3B24012, 0x1802A512
	;; [unrolled: 3-line block ×5, first 2 shown]
.long 0xBF820036
.long 0xBF8C0F73
.long 0xD3B24010, 0x18029910
.long 0xD3B24012, 0x18029D12
.long 0xBF8C0F72
.long 0xD3B24010, 0x1802A110
.long 0xD3B24012, 0x1802A512
	;; [unrolled: 3-line block ×4, first 2 shown]
.long 0xBF820021
.long 0xBF8C0F72
.long 0xD3B24010, 0x18029910
.long 0xD3B24012, 0x18029D12
.long 0xBF8C0F71
.long 0xD3B24010, 0x1802A110
.long 0xD3B24012, 0x1802A512
	;; [unrolled: 3-line block ×3, first 2 shown]
.long 0xBF820011
.long 0xBF8C0F71
.long 0xD3B24010, 0x18029910
.long 0xD3B24012, 0x18029D12
.long 0xBF8C0F70
.long 0xD3B24010, 0x1802A110
.long 0xD3B24012, 0x1802A512
.long 0xBF820006
.long 0xBF8C0F70
.long 0xD3B24010, 0x18029910
.long 0xD3B24012, 0x18029D12
.long 0xBF820000
.long 0x0A202030
	;; [unrolled: 1-line block ×5, first 2 shown]
.long 0xD3A00010, 0x14421831
.long 0xD3A01011, 0x14461831
	;; [unrolled: 1-line block ×4, first 2 shown]
.long 0x7E201510
.long 0x7E221511
.long 0xD2A00010, 0x00022310
.long 0x7E241512
.long 0x7E261513
.long 0xD2A00011, 0x00022712
.long 0xE074D000, 0x800E1007
.long 0xBF800000
.long 0xBF800000
	;; [unrolled: 1-line block ×3, first 2 shown]
.long 0x7E2002FF, 0x80000000
.long 0xD0C9003C, 0x00003900
	;; [unrolled: 1-line block ×3, first 2 shown]
.long 0x86C0403C
.long 0xD1FE0006, 0x02060102
.long 0xD1000006, 0x01020D10
	;; [unrolled: 1-line block ×11, first 2 shown]
.long 0xBF800001
.long 0xE07CD000, 0x80030C06
.long 0xBF800000
.long 0x92431415
	;; [unrolled: 1-line block ×16, first 2 shown]
.long 0xC2330CCC, 0x00000000
.long 0x9649811C
.long 0x9248811C
	;; [unrolled: 1-line block ×15, first 2 shown]
.long 0x7E2002FF, 0x80000000
.long 0xBEC80016
.long 0xBEC90017
	;; [unrolled: 1-line block ×7, first 2 shown]
.long 0xE05CD000, 0x80120C06
.long 0xBE850032
.long 0x81858105
	;; [unrolled: 1-line block ×6, first 2 shown]
.long 0xE05CD000, 0x80124C06
.long 0x81858105
.long 0x80484448
.long 0x82494549
.long 0xBF008005
.long 0xBF850364
.long 0xE05CD000, 0x80125006
.long 0x81858105
.long 0x80484448
.long 0x82494549
.long 0xBF008005
.long 0xBF850352
	;; [unrolled: 6-line block ×14, first 2 shown]
.long 0xE05CD000, 0x80128406
.long 0xBF8C0F7E
.long 0xD3B2400C, 0x1802990C
.long 0xD3B2400E, 0x18029D0E
.long 0x81858105
.long 0xBF05CE05
.long 0xBF850305
.long 0x80484448
.long 0x82494549
.long 0xD0C60046, 0x00000A80
.long 0xD1000011, 0x011A2106
.long 0xE05CD000, 0x80124C11
.long 0xBF8C0F7E
.long 0xD3B2400C, 0x1802A10C
.long 0xD3B2400E, 0x1802A50E
.long 0x81858105
.long 0xBF05CE05
.long 0xBF8502F5
.long 0x80484448
.long 0x82494549
.long 0xD0C60046, 0x00000A80
.long 0xD1000011, 0x011A2106
	;; [unrolled: 11-line block ×15, first 2 shown]
.long 0xE05CD000, 0x80128411
.long 0xBF02CE05
.long 0xBF85FF0E
	;; [unrolled: 1-line block ×3, first 2 shown]
.long 0xD3B2400C, 0x1802990C
.long 0xD3B2400E, 0x18029D0E
.long 0xBF8C0F7C
.long 0xD3B2400C, 0x1802A10C
.long 0xD3B2400E, 0x1802A50E
.long 0xBF8C0F7B
	;; [unrolled: 3-line block ×14, first 2 shown]
.long 0xBF8C0F7C
.long 0xD3B2400C, 0x1802990C
.long 0xD3B2400E, 0x18029D0E
.long 0xBF8C0F7B
.long 0xD3B2400C, 0x1802A10C
.long 0xD3B2400E, 0x1802A50E
	;; [unrolled: 3-line block ×13, first 2 shown]
.long 0xBF820192
.long 0xBF8C0F7B
.long 0xD3B2400C, 0x1802990C
.long 0xD3B2400E, 0x18029D0E
.long 0xBF8C0F7A
.long 0xD3B2400C, 0x1802A10C
.long 0xD3B2400E, 0x1802A50E
	;; [unrolled: 3-line block ×12, first 2 shown]
.long 0xBF820155
.long 0xBF8C0F7A
.long 0xD3B2400C, 0x1802990C
.long 0xD3B2400E, 0x18029D0E
.long 0xBF8C0F79
.long 0xD3B2400C, 0x1802A10C
.long 0xD3B2400E, 0x1802A50E
	;; [unrolled: 3-line block ×11, first 2 shown]
.long 0xBF82011D
.long 0xBF8C0F79
.long 0xD3B2400C, 0x1802990C
.long 0xD3B2400E, 0x18029D0E
.long 0xBF8C0F78
.long 0xD3B2400C, 0x1802A10C
.long 0xD3B2400E, 0x1802A50E
	;; [unrolled: 3-line block ×10, first 2 shown]
.long 0xBF8200EA
.long 0xBF8C0F78
.long 0xD3B2400C, 0x1802990C
.long 0xD3B2400E, 0x18029D0E
.long 0xBF8C0F77
.long 0xD3B2400C, 0x1802A10C
.long 0xD3B2400E, 0x1802A50E
.long 0xBF8C0F76
.long 0xD3B2400C, 0x1802A90C
.long 0xD3B2400E, 0x1802AD0E
.long 0xBF8C0F75
.long 0xD3B2400C, 0x1802B10C
.long 0xD3B2400E, 0x1802B50E
.long 0xBF8C0F74
.long 0xD3B2400C, 0x1802B90C
.long 0xD3B2400E, 0x1802BD0E
.long 0xBF8C0F73
.long 0xD3B2400C, 0x1802C10C
.long 0xD3B2400E, 0x1802C50E
.long 0xBF8C0F72
.long 0xD3B2400C, 0x1802C90C
.long 0xD3B2400E, 0x1802CD0E
.long 0xBF8C0F71
.long 0xD3B2400C, 0x1802D10C
.long 0xD3B2400E, 0x1802D50E
.long 0xBF8C0F70
.long 0xD3B2400C, 0x1802D90C
.long 0xD3B2400E, 0x1802DD0E
.long 0xBF8200BC
.long 0xBF8C0F77
.long 0xD3B2400C, 0x1802990C
.long 0xD3B2400E, 0x18029D0E
.long 0xBF8C0F76
.long 0xD3B2400C, 0x1802A10C
.long 0xD3B2400E, 0x1802A50E
	;; [unrolled: 3-line block ×8, first 2 shown]
.long 0xBF820093
.long 0xBF8C0F76
.long 0xD3B2400C, 0x1802990C
.long 0xD3B2400E, 0x18029D0E
.long 0xBF8C0F75
.long 0xD3B2400C, 0x1802A10C
.long 0xD3B2400E, 0x1802A50E
	;; [unrolled: 3-line block ×7, first 2 shown]
.long 0xBF82006F
.long 0xBF8C0F75
.long 0xD3B2400C, 0x1802990C
.long 0xD3B2400E, 0x18029D0E
.long 0xBF8C0F74
.long 0xD3B2400C, 0x1802A10C
.long 0xD3B2400E, 0x1802A50E
	;; [unrolled: 3-line block ×6, first 2 shown]
.long 0xBF820050
.long 0xBF8C0F74
.long 0xD3B2400C, 0x1802990C
.long 0xD3B2400E, 0x18029D0E
.long 0xBF8C0F73
.long 0xD3B2400C, 0x1802A10C
.long 0xD3B2400E, 0x1802A50E
	;; [unrolled: 3-line block ×5, first 2 shown]
.long 0xBF820036
.long 0xBF8C0F73
.long 0xD3B2400C, 0x1802990C
.long 0xD3B2400E, 0x18029D0E
.long 0xBF8C0F72
.long 0xD3B2400C, 0x1802A10C
.long 0xD3B2400E, 0x1802A50E
	;; [unrolled: 3-line block ×4, first 2 shown]
.long 0xBF820021
.long 0xBF8C0F72
.long 0xD3B2400C, 0x1802990C
.long 0xD3B2400E, 0x18029D0E
.long 0xBF8C0F71
.long 0xD3B2400C, 0x1802A10C
.long 0xD3B2400E, 0x1802A50E
	;; [unrolled: 3-line block ×3, first 2 shown]
.long 0xBF820011
.long 0xBF8C0F71
.long 0xD3B2400C, 0x1802990C
.long 0xD3B2400E, 0x18029D0E
.long 0xBF8C0F70
.long 0xD3B2400C, 0x1802A10C
.long 0xD3B2400E, 0x1802A50E
.long 0xBF820006
.long 0xBF8C0F70
.long 0xD3B2400C, 0x1802990C
.long 0xD3B2400E, 0x18029D0E
.long 0xBF820000
.long 0x0A181830
	;; [unrolled: 1-line block ×6, first 2 shown]
.long 0xD3A0000C, 0x14321031
.long 0xD3A0100D, 0x14361031
	;; [unrolled: 1-line block ×4, first 2 shown]
.long 0x7E18150C
.long 0x7E1A150D
.long 0xD2A0000C, 0x00021B0C
.long 0x7E1C150E
.long 0x7E1E150F
.long 0xD2A0000D, 0x00021F0E
.long 0xE074D000, 0x800E0C07
.long 0xBF800000
.long 0xBF800000
.long 0xBF820000
.long 0xBEBC1C00
.long 0x813E84FF, 0x00000300
.long 0x803C3E3C
.long 0x823D803D
	;; [unrolled: 1-line block ×17, first 2 shown]
.long 0xD1FE0006, 0x02060103
.long 0xD3D84008, 0x18000100
	;; [unrolled: 1-line block ×5, first 2 shown]
.long 0xBF800001
.long 0xBF800000
	;; [unrolled: 1-line block ×8, first 2 shown]
.long 0xD2A00008, 0x00021308
.long 0x7E14150A
.long 0x7E16150B
.long 0xD2A00009, 0x0002170A
.long 0xE074D000, 0x80030806
.long 0xBF800000
.long 0xBF800000
	;; [unrolled: 1-line block ×3, first 2 shown]
.long 0x7E0E02FF, 0x80000000
.long 0xD0C9003C, 0x00003900
	;; [unrolled: 1-line block ×3, first 2 shown]
.long 0x86C0403C
.long 0xD1FE0006, 0x02060103
.long 0xD1000006, 0x01020D07
	;; [unrolled: 1-line block ×6, first 2 shown]
.long 0xBF800001
.long 0xBF800000
	;; [unrolled: 1-line block ×8, first 2 shown]
.long 0xD2A00008, 0x00021308
.long 0x7E14150A
.long 0x7E16150B
.long 0xD2A00009, 0x0002170A
.long 0xE074D000, 0x80030806
.long 0xBF800000
.long 0xBF800000
.long 0xBF82006B
.long 0x863C1CBF
.long 0x803D14C1
.long 0xBF093D02
.long 0x853C803C
.long 0xB53C0000
.long 0xBF850030
.long 0x863C1D8F
.long 0x803D15C1
.long 0xBF093D03
.long 0x853C803C
.long 0xB53C0000
.long 0xBF85002A
.long 0xD1FE0007, 0x02060102
.long 0xE0541000, 0x80040807
	;; [unrolled: 1-line block ×7, first 2 shown]
.long 0xBF800001
.long 0xBF800000
	;; [unrolled: 1-line block ×7, first 2 shown]
.long 0xD3A0000C, 0x14321031
.long 0xD3A0100D, 0x14361031
	;; [unrolled: 1-line block ×4, first 2 shown]
.long 0x7E18150C
.long 0x7E1A150D
.long 0xD2A0000C, 0x00021B0C
.long 0x7E1C150E
.long 0x7E1E150F
.long 0xD2A0000D, 0x00021F0E
.long 0xE074D000, 0x80030C06
.long 0xBF800000
.long 0xBF800000
	;; [unrolled: 1-line block ×3, first 2 shown]
.long 0x7E0E02FF, 0x80000000
.long 0xD0C9003C, 0x00003900
	;; [unrolled: 1-line block ×3, first 2 shown]
.long 0x86C0403C
.long 0xD1FE0006, 0x02060102
.long 0xD1000006, 0x01020D07
	;; [unrolled: 1-line block ×9, first 2 shown]
.long 0xBF800001
.long 0xBF800000
	;; [unrolled: 1-line block ×7, first 2 shown]
.long 0xD3A0000C, 0x14321031
.long 0xD3A0100D, 0x14361031
.long 0xD3A0000E, 0x143A1231
.long 0xD3A0100F, 0x143E1231
.long 0x7E18150C
.long 0x7E1A150D
.long 0xD2A0000C, 0x00021B0C
.long 0x7E1C150E
.long 0x7E1E150F
.long 0xD2A0000D, 0x00021F0E
.long 0xE074D000, 0x80030C06
.long 0xBF800000
.long 0xBF800000
.long 0xBF820000
.long 0xBF810000
